;; amdgpu-corpus repo=ROCm/aiter kind=compiled arch=gfx906 opt=O3
	.amdgcn_target "amdgcn-amd-amdhsa--gfx906"
	.amdhsa_code_object_version 6
	.section	.text._Z22predicated_copy_kernelILi256ELi4EEvPKfPfi,"axG",@progbits,_Z22predicated_copy_kernelILi256ELi4EEvPKfPfi,comdat
	.protected	_Z22predicated_copy_kernelILi256ELi4EEvPKfPfi ; -- Begin function _Z22predicated_copy_kernelILi256ELi4EEvPKfPfi
	.globl	_Z22predicated_copy_kernelILi256ELi4EEvPKfPfi
	.p2align	8
	.type	_Z22predicated_copy_kernelILi256ELi4EEvPKfPfi,@function
_Z22predicated_copy_kernelILi256ELi4EEvPKfPfi: ; @_Z22predicated_copy_kernelILi256ELi4EEvPKfPfi
; %bb.0:
	s_load_dwordx2 s[12:13], s[4:5], 0x0
	s_load_dword s7, s[4:5], 0x10
	v_lshlrev_b32_e32 v0, 2, v0
	v_lshl_add_u32 v5, s6, 10, v0
	s_mov_b32 s15, 0x20000
	s_mov_b32 s14, -1
	s_waitcnt lgkmcnt(0)
	s_and_b32 s13, s13, 0xffff
	v_cmp_gt_i32_e32 vcc, s7, v5
	v_mov_b32_e32 v1, 0
	v_lshlrev_b32_e32 v0, 2, v5
	v_mov_b32_e32 v3, 0
	s_and_saveexec_b64 s[0:1], vcc
	s_cbranch_execz .LBB0_2
; %bb.1:
	buffer_load_dword v3, v0, s[12:15], 0 offen
.LBB0_2:
	s_or_b64 exec, exec, s[0:1]
	v_or_b32_e32 v2, 1, v5
	v_cmp_gt_i32_e64 s[0:1], s7, v2
	s_and_saveexec_b64 s[2:3], s[0:1]
	s_cbranch_execz .LBB0_4
; %bb.3:
	buffer_load_dword v1, v0, s[12:15], 0 offen offset:4
.LBB0_4:
	s_or_b64 exec, exec, s[2:3]
	s_load_dwordx2 s[8:9], s[4:5], 0x8
	v_or_b32_e32 v2, 2, v5
	v_cmp_gt_i32_e64 s[2:3], s7, v2
	v_mov_b32_e32 v2, 0
	v_mov_b32_e32 v4, 0
	s_and_saveexec_b64 s[4:5], s[2:3]
	s_cbranch_execz .LBB0_6
; %bb.5:
	buffer_load_dword v4, v0, s[12:15], 0 offen offset:8
.LBB0_6:
	s_or_b64 exec, exec, s[4:5]
	v_or_b32_e32 v5, 3, v5
	v_cmp_gt_i32_e64 s[4:5], s7, v5
	s_and_saveexec_b64 s[6:7], s[4:5]
	s_cbranch_execz .LBB0_8
; %bb.7:
	buffer_load_dword v2, v0, s[12:15], 0 offen offset:12
.LBB0_8:
	s_or_b64 exec, exec, s[6:7]
	s_mov_b32 s11, 0x20000
	s_mov_b32 s10, -1
	s_waitcnt lgkmcnt(0)
	s_and_b32 s9, s9, 0xffff
	s_and_saveexec_b64 s[6:7], vcc
	s_cbranch_execnz .LBB0_13
; %bb.9:
	s_or_b64 exec, exec, s[6:7]
	s_and_saveexec_b64 s[6:7], s[0:1]
	s_cbranch_execnz .LBB0_14
.LBB0_10:
	s_or_b64 exec, exec, s[6:7]
	s_and_saveexec_b64 s[0:1], s[2:3]
	s_cbranch_execnz .LBB0_15
.LBB0_11:
	s_or_b64 exec, exec, s[0:1]
	s_and_saveexec_b64 s[0:1], s[4:5]
	s_cbranch_execnz .LBB0_16
.LBB0_12:
	s_endpgm
.LBB0_13:
	s_waitcnt vmcnt(0)
	buffer_store_dword v3, v0, s[8:11], 0 offen
	s_or_b64 exec, exec, s[6:7]
	s_and_saveexec_b64 s[6:7], s[0:1]
	s_cbranch_execz .LBB0_10
.LBB0_14:
	s_waitcnt vmcnt(0)
	buffer_store_dword v1, v0, s[8:11], 0 offen offset:4
	s_or_b64 exec, exec, s[6:7]
	s_and_saveexec_b64 s[0:1], s[2:3]
	s_cbranch_execz .LBB0_11
.LBB0_15:
	s_waitcnt vmcnt(0)
	buffer_store_dword v4, v0, s[8:11], 0 offen offset:8
	s_or_b64 exec, exec, s[0:1]
	s_and_saveexec_b64 s[0:1], s[4:5]
	s_cbranch_execz .LBB0_12
.LBB0_16:
	s_waitcnt vmcnt(0)
	buffer_store_dword v2, v0, s[8:11], 0 offen offset:12
	s_endpgm
	.section	.rodata,"a",@progbits
	.p2align	6, 0x0
	.amdhsa_kernel _Z22predicated_copy_kernelILi256ELi4EEvPKfPfi
		.amdhsa_group_segment_fixed_size 0
		.amdhsa_private_segment_fixed_size 0
		.amdhsa_kernarg_size 20
		.amdhsa_user_sgpr_count 6
		.amdhsa_user_sgpr_private_segment_buffer 1
		.amdhsa_user_sgpr_dispatch_ptr 0
		.amdhsa_user_sgpr_queue_ptr 0
		.amdhsa_user_sgpr_kernarg_segment_ptr 1
		.amdhsa_user_sgpr_dispatch_id 0
		.amdhsa_user_sgpr_flat_scratch_init 0
		.amdhsa_user_sgpr_private_segment_size 0
		.amdhsa_uses_dynamic_stack 0
		.amdhsa_system_sgpr_private_segment_wavefront_offset 0
		.amdhsa_system_sgpr_workgroup_id_x 1
		.amdhsa_system_sgpr_workgroup_id_y 0
		.amdhsa_system_sgpr_workgroup_id_z 0
		.amdhsa_system_sgpr_workgroup_info 0
		.amdhsa_system_vgpr_workitem_id 0
		.amdhsa_next_free_vgpr 6
		.amdhsa_next_free_sgpr 16
		.amdhsa_reserve_vcc 1
		.amdhsa_reserve_flat_scratch 0
		.amdhsa_float_round_mode_32 0
		.amdhsa_float_round_mode_16_64 0
		.amdhsa_float_denorm_mode_32 3
		.amdhsa_float_denorm_mode_16_64 3
		.amdhsa_dx10_clamp 1
		.amdhsa_ieee_mode 1
		.amdhsa_fp16_overflow 0
		.amdhsa_exception_fp_ieee_invalid_op 0
		.amdhsa_exception_fp_denorm_src 0
		.amdhsa_exception_fp_ieee_div_zero 0
		.amdhsa_exception_fp_ieee_overflow 0
		.amdhsa_exception_fp_ieee_underflow 0
		.amdhsa_exception_fp_ieee_inexact 0
		.amdhsa_exception_int_div_zero 0
	.end_amdhsa_kernel
	.section	.text._Z22predicated_copy_kernelILi256ELi4EEvPKfPfi,"axG",@progbits,_Z22predicated_copy_kernelILi256ELi4EEvPKfPfi,comdat
.Lfunc_end0:
	.size	_Z22predicated_copy_kernelILi256ELi4EEvPKfPfi, .Lfunc_end0-_Z22predicated_copy_kernelILi256ELi4EEvPKfPfi
                                        ; -- End function
	.set _Z22predicated_copy_kernelILi256ELi4EEvPKfPfi.num_vgpr, 6
	.set _Z22predicated_copy_kernelILi256ELi4EEvPKfPfi.num_agpr, 0
	.set _Z22predicated_copy_kernelILi256ELi4EEvPKfPfi.numbered_sgpr, 16
	.set _Z22predicated_copy_kernelILi256ELi4EEvPKfPfi.num_named_barrier, 0
	.set _Z22predicated_copy_kernelILi256ELi4EEvPKfPfi.private_seg_size, 0
	.set _Z22predicated_copy_kernelILi256ELi4EEvPKfPfi.uses_vcc, 1
	.set _Z22predicated_copy_kernelILi256ELi4EEvPKfPfi.uses_flat_scratch, 0
	.set _Z22predicated_copy_kernelILi256ELi4EEvPKfPfi.has_dyn_sized_stack, 0
	.set _Z22predicated_copy_kernelILi256ELi4EEvPKfPfi.has_recursion, 0
	.set _Z22predicated_copy_kernelILi256ELi4EEvPKfPfi.has_indirect_call, 0
	.section	.AMDGPU.csdata,"",@progbits
; Kernel info:
; codeLenInByte = 360
; TotalNumSgprs: 20
; NumVgprs: 6
; ScratchSize: 0
; MemoryBound: 0
; FloatMode: 240
; IeeeMode: 1
; LDSByteSize: 0 bytes/workgroup (compile time only)
; SGPRBlocks: 2
; VGPRBlocks: 1
; NumSGPRsForWavesPerEU: 20
; NumVGPRsForWavesPerEU: 6
; Occupancy: 10
; WaveLimiterHint : 0
; COMPUTE_PGM_RSRC2:SCRATCH_EN: 0
; COMPUTE_PGM_RSRC2:USER_SGPR: 6
; COMPUTE_PGM_RSRC2:TRAP_HANDLER: 0
; COMPUTE_PGM_RSRC2:TGID_X_EN: 1
; COMPUTE_PGM_RSRC2:TGID_Y_EN: 0
; COMPUTE_PGM_RSRC2:TGID_Z_EN: 0
; COMPUTE_PGM_RSRC2:TIDIG_COMP_CNT: 0
	.section	.text._Z20free_func_add_kernelILi256ELi4EEvPKfS1_Pfi,"axG",@progbits,_Z20free_func_add_kernelILi256ELi4EEvPKfS1_Pfi,comdat
	.protected	_Z20free_func_add_kernelILi256ELi4EEvPKfS1_Pfi ; -- Begin function _Z20free_func_add_kernelILi256ELi4EEvPKfS1_Pfi
	.globl	_Z20free_func_add_kernelILi256ELi4EEvPKfS1_Pfi
	.p2align	8
	.type	_Z20free_func_add_kernelILi256ELi4EEvPKfS1_Pfi,@function
_Z20free_func_add_kernelILi256ELi4EEvPKfS1_Pfi: ; @_Z20free_func_add_kernelILi256ELi4EEvPKfS1_Pfi
; %bb.0:
	s_load_dword s14, s[6:7], 0x18
	v_lshlrev_b32_e32 v1, 2, v0
	v_lshl_add_u32 v1, s8, 10, v1
	s_waitcnt lgkmcnt(0)
	v_cmp_gt_i32_e32 vcc, s14, v1
	s_and_saveexec_b64 s[0:1], vcc
	s_cbranch_execz .LBB1_3
; %bb.1:
	s_load_dwordx4 s[20:23], s[6:7], 0x0
	s_load_dwordx2 s[0:1], s[6:7], 0x10
	s_load_dword s2, s[4:5], 0xc
	s_mov_b32 s7, 0x20000
	s_mov_b32 s6, -1
	s_waitcnt lgkmcnt(0)
	s_and_b32 s21, s21, 0xffff
	v_lshlrev_b32_e32 v0, 4, v0
	s_and_b32 s9, s23, 0xffff
	s_and_b32 s1, s1, 0xffff
	s_lshl_b32 s15, s2, 2
	v_lshl_add_u32 v0, s8, 12, v0
	s_lshl_b32 s16, s2, 4
	s_mov_b64 s[12:13], 0
	s_mov_b32 s4, s20
	s_mov_b32 s5, s21
	;; [unrolled: 1-line block ×7, first 2 shown]
.LBB1_2:                                ; =>This Inner Loop Header: Depth=1
	buffer_load_dwordx4 v[2:5], v0, s[4:7], 0 offen
	buffer_load_dwordx4 v[6:9], v0, s[8:11], 0 offen
	v_add_u32_e32 v1, s15, v1
	v_cmp_le_i32_e32 vcc, s14, v1
	s_or_b64 s[12:13], vcc, s[12:13]
	s_waitcnt vmcnt(0)
	v_add_f32_e32 v2, v2, v6
	v_add_f32_e32 v3, v3, v7
	v_add_f32_e32 v4, v4, v8
	v_add_f32_e32 v5, v5, v9
	buffer_store_dwordx4 v[2:5], v0, s[0:3], 0 offen
	v_add_u32_e32 v0, s16, v0
	s_andn2_b64 exec, exec, s[12:13]
	s_cbranch_execnz .LBB1_2
.LBB1_3:
	s_endpgm
	.section	.rodata,"a",@progbits
	.p2align	6, 0x0
	.amdhsa_kernel _Z20free_func_add_kernelILi256ELi4EEvPKfS1_Pfi
		.amdhsa_group_segment_fixed_size 0
		.amdhsa_private_segment_fixed_size 0
		.amdhsa_kernarg_size 28
		.amdhsa_user_sgpr_count 8
		.amdhsa_user_sgpr_private_segment_buffer 1
		.amdhsa_user_sgpr_dispatch_ptr 1
		.amdhsa_user_sgpr_queue_ptr 0
		.amdhsa_user_sgpr_kernarg_segment_ptr 1
		.amdhsa_user_sgpr_dispatch_id 0
		.amdhsa_user_sgpr_flat_scratch_init 0
		.amdhsa_user_sgpr_private_segment_size 0
		.amdhsa_uses_dynamic_stack 0
		.amdhsa_system_sgpr_private_segment_wavefront_offset 0
		.amdhsa_system_sgpr_workgroup_id_x 1
		.amdhsa_system_sgpr_workgroup_id_y 0
		.amdhsa_system_sgpr_workgroup_id_z 0
		.amdhsa_system_sgpr_workgroup_info 0
		.amdhsa_system_vgpr_workitem_id 0
		.amdhsa_next_free_vgpr 10
		.amdhsa_next_free_sgpr 24
		.amdhsa_reserve_vcc 1
		.amdhsa_reserve_flat_scratch 0
		.amdhsa_float_round_mode_32 0
		.amdhsa_float_round_mode_16_64 0
		.amdhsa_float_denorm_mode_32 3
		.amdhsa_float_denorm_mode_16_64 3
		.amdhsa_dx10_clamp 1
		.amdhsa_ieee_mode 1
		.amdhsa_fp16_overflow 0
		.amdhsa_exception_fp_ieee_invalid_op 0
		.amdhsa_exception_fp_denorm_src 0
		.amdhsa_exception_fp_ieee_div_zero 0
		.amdhsa_exception_fp_ieee_overflow 0
		.amdhsa_exception_fp_ieee_underflow 0
		.amdhsa_exception_fp_ieee_inexact 0
		.amdhsa_exception_int_div_zero 0
	.end_amdhsa_kernel
	.section	.text._Z20free_func_add_kernelILi256ELi4EEvPKfS1_Pfi,"axG",@progbits,_Z20free_func_add_kernelILi256ELi4EEvPKfS1_Pfi,comdat
.Lfunc_end1:
	.size	_Z20free_func_add_kernelILi256ELi4EEvPKfS1_Pfi, .Lfunc_end1-_Z20free_func_add_kernelILi256ELi4EEvPKfS1_Pfi
                                        ; -- End function
	.set _Z20free_func_add_kernelILi256ELi4EEvPKfS1_Pfi.num_vgpr, 10
	.set _Z20free_func_add_kernelILi256ELi4EEvPKfS1_Pfi.num_agpr, 0
	.set _Z20free_func_add_kernelILi256ELi4EEvPKfS1_Pfi.numbered_sgpr, 24
	.set _Z20free_func_add_kernelILi256ELi4EEvPKfS1_Pfi.num_named_barrier, 0
	.set _Z20free_func_add_kernelILi256ELi4EEvPKfS1_Pfi.private_seg_size, 0
	.set _Z20free_func_add_kernelILi256ELi4EEvPKfS1_Pfi.uses_vcc, 1
	.set _Z20free_func_add_kernelILi256ELi4EEvPKfS1_Pfi.uses_flat_scratch, 0
	.set _Z20free_func_add_kernelILi256ELi4EEvPKfS1_Pfi.has_dyn_sized_stack, 0
	.set _Z20free_func_add_kernelILi256ELi4EEvPKfS1_Pfi.has_recursion, 0
	.set _Z20free_func_add_kernelILi256ELi4EEvPKfS1_Pfi.has_indirect_call, 0
	.section	.AMDGPU.csdata,"",@progbits
; Kernel info:
; codeLenInByte = 224
; TotalNumSgprs: 28
; NumVgprs: 10
; ScratchSize: 0
; MemoryBound: 0
; FloatMode: 240
; IeeeMode: 1
; LDSByteSize: 0 bytes/workgroup (compile time only)
; SGPRBlocks: 3
; VGPRBlocks: 2
; NumSGPRsForWavesPerEU: 28
; NumVGPRsForWavesPerEU: 10
; Occupancy: 10
; WaveLimiterHint : 0
; COMPUTE_PGM_RSRC2:SCRATCH_EN: 0
; COMPUTE_PGM_RSRC2:USER_SGPR: 8
; COMPUTE_PGM_RSRC2:TRAP_HANDLER: 0
; COMPUTE_PGM_RSRC2:TGID_X_EN: 1
; COMPUTE_PGM_RSRC2:TGID_Y_EN: 0
; COMPUTE_PGM_RSRC2:TGID_Z_EN: 0
; COMPUTE_PGM_RSRC2:TIDIG_COMP_CNT: 0
	.section	.text._Z28predicated_async_load_kernelILi256EEvPKfPfii,"axG",@progbits,_Z28predicated_async_load_kernelILi256EEvPKfPfii,comdat
	.protected	_Z28predicated_async_load_kernelILi256EEvPKfPfii ; -- Begin function _Z28predicated_async_load_kernelILi256EEvPKfPfii
	.globl	_Z28predicated_async_load_kernelILi256EEvPKfPfii
	.p2align	8
	.type	_Z28predicated_async_load_kernelILi256EEvPKfPfii,@function
_Z28predicated_async_load_kernelILi256EEvPKfPfii: ; @_Z28predicated_async_load_kernelILi256EEvPKfPfii
; %bb.0:
	s_load_dwordx2 s[2:3], s[4:5], 0x10
	v_lshl_add_u32 v1, s6, 8, v0
	s_waitcnt lgkmcnt(0)
	v_cmp_gt_i32_e32 vcc, s3, v1
	s_and_saveexec_b64 s[0:1], vcc
	s_cbranch_execz .LBB2_4
; %bb.1:
	s_load_dwordx2 s[0:1], s[4:5], 0x8
	v_cmp_gt_i32_e32 vcc, s2, v1
	v_mov_b32_e32 v2, 0
	s_and_saveexec_b64 s[6:7], vcc
	s_cbranch_execz .LBB2_3
; %bb.2:
	s_load_dwordx2 s[8:9], s[4:5], 0x0
	v_lshlrev_b32_e32 v2, 2, v1
	s_lshl_b32 s10, s2, 2
	s_mov_b32 s11, 0x20000
	s_waitcnt lgkmcnt(0)
	s_and_b32 s9, s9, 0xffff
	buffer_load_dword v2, v2, s[8:11], 0 offen
.LBB2_3:
	s_or_b64 exec, exec, s[6:7]
	v_lshlrev_b32_e32 v0, 2, v0
	s_waitcnt vmcnt(0)
	ds_write_b32 v0, v2
	s_waitcnt vmcnt(0) lgkmcnt(0)
	s_barrier
	ds_read_b32 v3, v0
	v_ashrrev_i32_e32 v2, 31, v1
	v_lshlrev_b64 v[0:1], 2, v[1:2]
	v_mov_b32_e32 v2, s1
	v_add_co_u32_e32 v0, vcc, s0, v0
	v_addc_co_u32_e32 v1, vcc, v2, v1, vcc
	s_waitcnt lgkmcnt(0)
	global_store_dword v[0:1], v3, off
.LBB2_4:
	s_endpgm
	.section	.rodata,"a",@progbits
	.p2align	6, 0x0
	.amdhsa_kernel _Z28predicated_async_load_kernelILi256EEvPKfPfii
		.amdhsa_group_segment_fixed_size 1024
		.amdhsa_private_segment_fixed_size 0
		.amdhsa_kernarg_size 24
		.amdhsa_user_sgpr_count 6
		.amdhsa_user_sgpr_private_segment_buffer 1
		.amdhsa_user_sgpr_dispatch_ptr 0
		.amdhsa_user_sgpr_queue_ptr 0
		.amdhsa_user_sgpr_kernarg_segment_ptr 1
		.amdhsa_user_sgpr_dispatch_id 0
		.amdhsa_user_sgpr_flat_scratch_init 0
		.amdhsa_user_sgpr_private_segment_size 0
		.amdhsa_uses_dynamic_stack 0
		.amdhsa_system_sgpr_private_segment_wavefront_offset 0
		.amdhsa_system_sgpr_workgroup_id_x 1
		.amdhsa_system_sgpr_workgroup_id_y 0
		.amdhsa_system_sgpr_workgroup_id_z 0
		.amdhsa_system_sgpr_workgroup_info 0
		.amdhsa_system_vgpr_workitem_id 0
		.amdhsa_next_free_vgpr 4
		.amdhsa_next_free_sgpr 12
		.amdhsa_reserve_vcc 1
		.amdhsa_reserve_flat_scratch 0
		.amdhsa_float_round_mode_32 0
		.amdhsa_float_round_mode_16_64 0
		.amdhsa_float_denorm_mode_32 3
		.amdhsa_float_denorm_mode_16_64 3
		.amdhsa_dx10_clamp 1
		.amdhsa_ieee_mode 1
		.amdhsa_fp16_overflow 0
		.amdhsa_exception_fp_ieee_invalid_op 0
		.amdhsa_exception_fp_denorm_src 0
		.amdhsa_exception_fp_ieee_div_zero 0
		.amdhsa_exception_fp_ieee_overflow 0
		.amdhsa_exception_fp_ieee_underflow 0
		.amdhsa_exception_fp_ieee_inexact 0
		.amdhsa_exception_int_div_zero 0
	.end_amdhsa_kernel
	.section	.text._Z28predicated_async_load_kernelILi256EEvPKfPfii,"axG",@progbits,_Z28predicated_async_load_kernelILi256EEvPKfPfii,comdat
.Lfunc_end2:
	.size	_Z28predicated_async_load_kernelILi256EEvPKfPfii, .Lfunc_end2-_Z28predicated_async_load_kernelILi256EEvPKfPfii
                                        ; -- End function
	.set _Z28predicated_async_load_kernelILi256EEvPKfPfii.num_vgpr, 4
	.set _Z28predicated_async_load_kernelILi256EEvPKfPfii.num_agpr, 0
	.set _Z28predicated_async_load_kernelILi256EEvPKfPfii.numbered_sgpr, 12
	.set _Z28predicated_async_load_kernelILi256EEvPKfPfii.num_named_barrier, 0
	.set _Z28predicated_async_load_kernelILi256EEvPKfPfii.private_seg_size, 0
	.set _Z28predicated_async_load_kernelILi256EEvPKfPfii.uses_vcc, 1
	.set _Z28predicated_async_load_kernelILi256EEvPKfPfii.uses_flat_scratch, 0
	.set _Z28predicated_async_load_kernelILi256EEvPKfPfii.has_dyn_sized_stack, 0
	.set _Z28predicated_async_load_kernelILi256EEvPKfPfii.has_recursion, 0
	.set _Z28predicated_async_load_kernelILi256EEvPKfPfii.has_indirect_call, 0
	.section	.AMDGPU.csdata,"",@progbits
; Kernel info:
; codeLenInByte = 176
; TotalNumSgprs: 16
; NumVgprs: 4
; ScratchSize: 0
; MemoryBound: 0
; FloatMode: 240
; IeeeMode: 1
; LDSByteSize: 1024 bytes/workgroup (compile time only)
; SGPRBlocks: 1
; VGPRBlocks: 0
; NumSGPRsForWavesPerEU: 16
; NumVGPRsForWavesPerEU: 4
; Occupancy: 10
; WaveLimiterHint : 0
; COMPUTE_PGM_RSRC2:SCRATCH_EN: 0
; COMPUTE_PGM_RSRC2:USER_SGPR: 6
; COMPUTE_PGM_RSRC2:TRAP_HANDLER: 0
; COMPUTE_PGM_RSRC2:TGID_X_EN: 1
; COMPUTE_PGM_RSRC2:TGID_Y_EN: 0
; COMPUTE_PGM_RSRC2:TGID_Z_EN: 0
; COMPUTE_PGM_RSRC2:TIDIG_COMP_CNT: 0
	.section	.text._Z25predicated_copy_2d_kernelILi256ELi4ELi4EEvPKfPfiii,"axG",@progbits,_Z25predicated_copy_2d_kernelILi256ELi4ELi4EEvPKfPfiii,comdat
	.protected	_Z25predicated_copy_2d_kernelILi256ELi4ELi4EEvPKfPfiii ; -- Begin function _Z25predicated_copy_2d_kernelILi256ELi4ELi4EEvPKfPfiii
	.globl	_Z25predicated_copy_2d_kernelILi256ELi4ELi4EEvPKfPfiii
	.p2align	8
	.type	_Z25predicated_copy_2d_kernelILi256ELi4ELi4EEvPKfPfiii,@function
_Z25predicated_copy_2d_kernelILi256ELi4ELi4EEvPKfPfiii: ; @_Z25predicated_copy_2d_kernelILi256ELi4ELi4EEvPKfPfiii
; %bb.0:
	s_load_dwordx2 s[12:13], s[4:5], 0x0
	s_load_dwordx4 s[16:19], s[4:5], 0x10
	s_waitcnt lgkmcnt(0)
	s_lshl_b32 s19, s6, 2
	v_lshlrev_b32_e32 v6, 2, v0
	s_mov_b32 s15, 0x20000
	s_and_b32 s13, s13, 0xffff
	s_mul_i32 s0, s18, s19
	s_cmp_lt_i32 s19, s16
	v_add_u32_e32 v1, s0, v6
	s_cselect_b64 s[10:11], -1, 0
	v_cmp_gt_i32_e64 s[0:1], s17, v6
	s_mov_b32 s14, -1
	s_and_b64 s[6:7], s[10:11], s[0:1]
	v_mov_b32_e32 v0, 0
	v_mov_b32_e32 v3, 0
	s_and_saveexec_b64 s[2:3], s[6:7]
	s_cbranch_execz .LBB3_2
; %bb.1:
	v_lshlrev_b32_e32 v2, 2, v1
	buffer_load_dword v3, v2, s[12:15], 0 offen
.LBB3_2:
	s_or_b64 exec, exec, s[2:3]
	v_or_b32_e32 v2, 1, v6
	v_cmp_gt_i32_e64 s[2:3], s17, v2
	v_or_b32_e32 v4, 1, v1
	s_and_b64 s[8:9], s[10:11], s[2:3]
	s_and_saveexec_b64 s[6:7], s[8:9]
	s_cbranch_execz .LBB3_4
; %bb.3:
	v_lshlrev_b32_e32 v0, 2, v4
	buffer_load_dword v0, v0, s[12:15], 0 offen
.LBB3_4:
	s_or_b64 exec, exec, s[6:7]
	v_or_b32_e32 v2, 2, v6
	v_cmp_gt_i32_e64 s[8:9], s17, v2
	v_or_b32_e32 v5, 2, v1
	s_and_b64 s[20:21], s[10:11], s[8:9]
	v_mov_b32_e32 v2, 0
	v_mov_b32_e32 v7, 0
	s_and_saveexec_b64 s[6:7], s[20:21]
	s_cbranch_execz .LBB3_6
; %bb.5:
	v_lshlrev_b32_e32 v7, 2, v5
	buffer_load_dword v7, v7, s[12:15], 0 offen
.LBB3_6:
	s_or_b64 exec, exec, s[6:7]
	v_or_b32_e32 v6, 3, v6
	v_cmp_gt_i32_e64 s[6:7], s17, v6
	v_or_b32_e32 v8, 3, v1
	s_and_b64 s[22:23], s[10:11], s[6:7]
	s_and_saveexec_b64 s[20:21], s[22:23]
	s_cbranch_execz .LBB3_8
; %bb.7:
	v_lshlrev_b32_e32 v2, 2, v8
	buffer_load_dword v2, v2, s[12:15], 0 offen
.LBB3_8:
	s_or_b64 exec, exec, s[20:21]
	s_or_b32 s17, s19, 1
	s_cmp_lt_i32 s17, s16
	s_cselect_b64 s[20:21], -1, 0
	v_add_u32_e32 v9, s18, v1
	s_and_b64 s[24:25], s[20:21], s[0:1]
	v_mov_b32_e32 v6, 0
	v_mov_b32_e32 v11, 0
	s_and_saveexec_b64 s[22:23], s[24:25]
	s_cbranch_execz .LBB3_10
; %bb.9:
	v_lshlrev_b32_e32 v10, 2, v9
	buffer_load_dword v11, v10, s[12:15], 0 offen
.LBB3_10:
	s_or_b64 exec, exec, s[22:23]
	v_add_u32_e32 v12, s18, v4
	s_and_b64 s[24:25], s[20:21], s[2:3]
	s_and_saveexec_b64 s[22:23], s[24:25]
	s_cbranch_execz .LBB3_12
; %bb.11:
	v_lshlrev_b32_e32 v6, 2, v12
	buffer_load_dword v6, v6, s[12:15], 0 offen
.LBB3_12:
	s_or_b64 exec, exec, s[22:23]
	v_add_u32_e32 v14, s18, v5
	s_and_b64 s[24:25], s[20:21], s[8:9]
	v_mov_b32_e32 v10, 0
	v_mov_b32_e32 v15, 0
	s_and_saveexec_b64 s[22:23], s[24:25]
	s_cbranch_execz .LBB3_14
; %bb.13:
	v_lshlrev_b32_e32 v13, 2, v14
	buffer_load_dword v15, v13, s[12:15], 0 offen
.LBB3_14:
	s_or_b64 exec, exec, s[22:23]
	v_add_u32_e32 v17, s18, v8
	s_and_b64 s[24:25], s[20:21], s[6:7]
	s_and_saveexec_b64 s[22:23], s[24:25]
	s_cbranch_execz .LBB3_16
; %bb.15:
	v_lshlrev_b32_e32 v10, 2, v17
	buffer_load_dword v10, v10, s[12:15], 0 offen
.LBB3_16:
	s_or_b64 exec, exec, s[22:23]
	s_or_b32 s17, s19, 2
	s_cmp_lt_i32 s17, s16
	s_cselect_b64 s[22:23], -1, 0
	v_add_u32_e32 v16, s18, v9
	s_and_b64 s[26:27], s[22:23], s[0:1]
	v_mov_b32_e32 v13, 0
	v_mov_b32_e32 v19, 0
	s_and_saveexec_b64 s[24:25], s[26:27]
	s_cbranch_execz .LBB3_18
; %bb.17:
	v_lshlrev_b32_e32 v18, 2, v16
	buffer_load_dword v19, v18, s[12:15], 0 offen
.LBB3_18:
	s_or_b64 exec, exec, s[24:25]
	v_add_u32_e32 v20, s18, v12
	s_and_b64 s[26:27], s[22:23], s[2:3]
	s_and_saveexec_b64 s[24:25], s[26:27]
	s_cbranch_execz .LBB3_20
; %bb.19:
	v_lshlrev_b32_e32 v13, 2, v20
	buffer_load_dword v13, v13, s[12:15], 0 offen
.LBB3_20:
	s_or_b64 exec, exec, s[24:25]
	v_add_u32_e32 v22, s18, v14
	s_and_b64 s[26:27], s[22:23], s[8:9]
	v_mov_b32_e32 v18, 0
	v_mov_b32_e32 v23, 0
	s_and_saveexec_b64 s[24:25], s[26:27]
	s_cbranch_execz .LBB3_22
; %bb.21:
	v_lshlrev_b32_e32 v21, 2, v22
	buffer_load_dword v23, v21, s[12:15], 0 offen
.LBB3_22:
	s_or_b64 exec, exec, s[24:25]
	v_add_u32_e32 v25, s18, v17
	s_and_b64 s[26:27], s[22:23], s[6:7]
	s_and_saveexec_b64 s[24:25], s[26:27]
	s_cbranch_execz .LBB3_24
; %bb.23:
	v_lshlrev_b32_e32 v18, 2, v25
	buffer_load_dword v18, v18, s[12:15], 0 offen
.LBB3_24:
	s_or_b64 exec, exec, s[24:25]
	s_or_b32 s17, s19, 3
	s_cmp_lt_i32 s17, s16
	s_cselect_b64 s[24:25], -1, 0
	v_add_u32_e32 v24, s18, v16
	s_and_b64 s[26:27], s[24:25], s[0:1]
	v_mov_b32_e32 v21, 0
	v_mov_b32_e32 v27, 0
	s_and_saveexec_b64 s[16:17], s[26:27]
	s_cbranch_execz .LBB3_26
; %bb.25:
	v_lshlrev_b32_e32 v26, 2, v24
	buffer_load_dword v27, v26, s[12:15], 0 offen
.LBB3_26:
	s_or_b64 exec, exec, s[16:17]
	v_add_u32_e32 v28, s18, v20
	s_and_b64 s[26:27], s[24:25], s[2:3]
	s_and_saveexec_b64 s[16:17], s[26:27]
	s_cbranch_execz .LBB3_28
; %bb.27:
	v_lshlrev_b32_e32 v21, 2, v28
	buffer_load_dword v21, v21, s[12:15], 0 offen
.LBB3_28:
	s_or_b64 exec, exec, s[16:17]
	s_load_dwordx2 s[16:17], s[4:5], 0x8
	v_add_u32_e32 v29, s18, v22
	s_and_b64 s[26:27], s[24:25], s[8:9]
	v_mov_b32_e32 v26, 0
	v_mov_b32_e32 v30, 0
	s_and_saveexec_b64 s[4:5], s[26:27]
	s_cbranch_execz .LBB3_30
; %bb.29:
	v_lshlrev_b32_e32 v30, 2, v29
	buffer_load_dword v30, v30, s[12:15], 0 offen
.LBB3_30:
	s_or_b64 exec, exec, s[4:5]
	v_add_u32_e32 v31, s18, v25
	s_and_b64 s[18:19], s[24:25], s[6:7]
	s_and_saveexec_b64 s[4:5], s[18:19]
	s_cbranch_execz .LBB3_32
; %bb.31:
	v_lshlrev_b32_e32 v26, 2, v31
	buffer_load_dword v26, v26, s[12:15], 0 offen
.LBB3_32:
	s_or_b64 exec, exec, s[4:5]
	s_mov_b32 s19, 0x20000
	s_mov_b32 s18, -1
	s_andn2_b64 vcc, exec, s[10:11]
	s_waitcnt lgkmcnt(0)
	s_and_b32 s17, s17, 0xffff
	s_cbranch_vccz .LBB3_37
; %bb.33:
	s_andn2_b64 vcc, exec, s[20:21]
	s_cbranch_vccz .LBB3_43
.LBB3_34:
	s_andn2_b64 vcc, exec, s[22:23]
	s_cbranch_vccz .LBB3_49
.LBB3_35:
	s_andn2_b64 vcc, exec, s[24:25]
	s_cbranch_vccz .LBB3_55
.LBB3_36:
	s_endpgm
.LBB3_37:
	s_and_saveexec_b64 s[4:5], s[0:1]
	s_cbranch_execnz .LBB3_59
; %bb.38:
	s_or_b64 exec, exec, s[4:5]
	s_and_saveexec_b64 s[4:5], s[2:3]
	s_cbranch_execnz .LBB3_60
.LBB3_39:
	s_or_b64 exec, exec, s[4:5]
	s_and_saveexec_b64 s[4:5], s[8:9]
	s_cbranch_execnz .LBB3_61
.LBB3_40:
	s_or_b64 exec, exec, s[4:5]
	s_and_saveexec_b64 s[4:5], s[6:7]
	s_cbranch_execz .LBB3_42
.LBB3_41:
	s_waitcnt vmcnt(0)
	v_lshlrev_b32_e32 v0, 2, v8
	buffer_store_dword v2, v0, s[16:19], 0 offen
.LBB3_42:
	s_or_b64 exec, exec, s[4:5]
	s_andn2_b64 vcc, exec, s[20:21]
	s_cbranch_vccnz .LBB3_34
.LBB3_43:
	s_and_saveexec_b64 s[4:5], s[0:1]
	s_cbranch_execnz .LBB3_62
; %bb.44:
	s_or_b64 exec, exec, s[4:5]
	s_and_saveexec_b64 s[4:5], s[2:3]
	s_cbranch_execnz .LBB3_63
.LBB3_45:
	s_or_b64 exec, exec, s[4:5]
	s_and_saveexec_b64 s[4:5], s[8:9]
	s_cbranch_execnz .LBB3_64
.LBB3_46:
	s_or_b64 exec, exec, s[4:5]
	s_and_saveexec_b64 s[4:5], s[6:7]
	s_cbranch_execz .LBB3_48
.LBB3_47:
	s_waitcnt vmcnt(0)
	v_lshlrev_b32_e32 v0, 2, v17
	buffer_store_dword v10, v0, s[16:19], 0 offen
.LBB3_48:
	s_or_b64 exec, exec, s[4:5]
	s_andn2_b64 vcc, exec, s[22:23]
	s_cbranch_vccnz .LBB3_35
.LBB3_49:
	s_and_saveexec_b64 s[4:5], s[0:1]
	s_cbranch_execnz .LBB3_65
; %bb.50:
	s_or_b64 exec, exec, s[4:5]
	s_and_saveexec_b64 s[4:5], s[2:3]
	s_cbranch_execnz .LBB3_66
.LBB3_51:
	s_or_b64 exec, exec, s[4:5]
	s_and_saveexec_b64 s[4:5], s[8:9]
	s_cbranch_execnz .LBB3_67
.LBB3_52:
	s_or_b64 exec, exec, s[4:5]
	s_and_saveexec_b64 s[4:5], s[6:7]
	s_cbranch_execz .LBB3_54
.LBB3_53:
	s_waitcnt vmcnt(0)
	v_lshlrev_b32_e32 v0, 2, v25
	buffer_store_dword v18, v0, s[16:19], 0 offen
.LBB3_54:
	s_or_b64 exec, exec, s[4:5]
	s_andn2_b64 vcc, exec, s[24:25]
	s_cbranch_vccnz .LBB3_36
.LBB3_55:
	s_and_saveexec_b64 s[4:5], s[0:1]
	s_cbranch_execnz .LBB3_68
; %bb.56:
	s_or_b64 exec, exec, s[4:5]
	s_and_saveexec_b64 s[0:1], s[2:3]
	s_cbranch_execnz .LBB3_69
.LBB3_57:
	s_or_b64 exec, exec, s[0:1]
	s_and_saveexec_b64 s[0:1], s[8:9]
	s_cbranch_execnz .LBB3_70
.LBB3_58:
	s_or_b64 exec, exec, s[0:1]
	s_and_saveexec_b64 s[0:1], s[6:7]
	s_cbranch_execz .LBB3_36
	s_branch .LBB3_71
.LBB3_59:
	v_lshlrev_b32_e32 v1, 2, v1
	s_waitcnt vmcnt(0)
	buffer_store_dword v3, v1, s[16:19], 0 offen
	s_or_b64 exec, exec, s[4:5]
	s_and_saveexec_b64 s[4:5], s[2:3]
	s_cbranch_execz .LBB3_39
.LBB3_60:
	v_lshlrev_b32_e32 v1, 2, v4
	s_waitcnt vmcnt(0)
	buffer_store_dword v0, v1, s[16:19], 0 offen
	s_or_b64 exec, exec, s[4:5]
	s_and_saveexec_b64 s[4:5], s[8:9]
	s_cbranch_execz .LBB3_40
.LBB3_61:
	s_waitcnt vmcnt(0)
	v_lshlrev_b32_e32 v0, 2, v5
	buffer_store_dword v7, v0, s[16:19], 0 offen
	s_or_b64 exec, exec, s[4:5]
	s_and_saveexec_b64 s[4:5], s[6:7]
	s_cbranch_execnz .LBB3_41
	s_branch .LBB3_42
.LBB3_62:
	s_waitcnt vmcnt(0)
	v_lshlrev_b32_e32 v0, 2, v9
	buffer_store_dword v11, v0, s[16:19], 0 offen
	s_or_b64 exec, exec, s[4:5]
	s_and_saveexec_b64 s[4:5], s[2:3]
	s_cbranch_execz .LBB3_45
.LBB3_63:
	s_waitcnt vmcnt(0)
	v_lshlrev_b32_e32 v0, 2, v12
	buffer_store_dword v6, v0, s[16:19], 0 offen
	s_or_b64 exec, exec, s[4:5]
	s_and_saveexec_b64 s[4:5], s[8:9]
	s_cbranch_execz .LBB3_46
.LBB3_64:
	s_waitcnt vmcnt(0)
	v_lshlrev_b32_e32 v0, 2, v14
	buffer_store_dword v15, v0, s[16:19], 0 offen
	s_or_b64 exec, exec, s[4:5]
	s_and_saveexec_b64 s[4:5], s[6:7]
	s_cbranch_execnz .LBB3_47
	s_branch .LBB3_48
.LBB3_65:
	s_waitcnt vmcnt(0)
	v_lshlrev_b32_e32 v0, 2, v16
	buffer_store_dword v19, v0, s[16:19], 0 offen
	s_or_b64 exec, exec, s[4:5]
	s_and_saveexec_b64 s[4:5], s[2:3]
	s_cbranch_execz .LBB3_51
.LBB3_66:
	s_waitcnt vmcnt(0)
	v_lshlrev_b32_e32 v0, 2, v20
	buffer_store_dword v13, v0, s[16:19], 0 offen
	s_or_b64 exec, exec, s[4:5]
	s_and_saveexec_b64 s[4:5], s[8:9]
	s_cbranch_execz .LBB3_52
.LBB3_67:
	s_waitcnt vmcnt(0)
	v_lshlrev_b32_e32 v0, 2, v22
	buffer_store_dword v23, v0, s[16:19], 0 offen
	s_or_b64 exec, exec, s[4:5]
	s_and_saveexec_b64 s[4:5], s[6:7]
	s_cbranch_execnz .LBB3_53
	s_branch .LBB3_54
.LBB3_68:
	s_waitcnt vmcnt(0)
	v_lshlrev_b32_e32 v0, 2, v24
	buffer_store_dword v27, v0, s[16:19], 0 offen
	s_or_b64 exec, exec, s[4:5]
	s_and_saveexec_b64 s[0:1], s[2:3]
	s_cbranch_execz .LBB3_57
.LBB3_69:
	s_waitcnt vmcnt(0)
	v_lshlrev_b32_e32 v0, 2, v28
	buffer_store_dword v21, v0, s[16:19], 0 offen
	s_or_b64 exec, exec, s[0:1]
	s_and_saveexec_b64 s[0:1], s[8:9]
	s_cbranch_execz .LBB3_58
.LBB3_70:
	s_waitcnt vmcnt(0)
	v_lshlrev_b32_e32 v0, 2, v29
	buffer_store_dword v30, v0, s[16:19], 0 offen
	s_or_b64 exec, exec, s[0:1]
	s_and_saveexec_b64 s[0:1], s[6:7]
	s_cbranch_execz .LBB3_36
.LBB3_71:
	s_waitcnt vmcnt(0)
	v_lshlrev_b32_e32 v0, 2, v31
	buffer_store_dword v26, v0, s[16:19], 0 offen
	s_endpgm
	.section	.rodata,"a",@progbits
	.p2align	6, 0x0
	.amdhsa_kernel _Z25predicated_copy_2d_kernelILi256ELi4ELi4EEvPKfPfiii
		.amdhsa_group_segment_fixed_size 0
		.amdhsa_private_segment_fixed_size 0
		.amdhsa_kernarg_size 28
		.amdhsa_user_sgpr_count 6
		.amdhsa_user_sgpr_private_segment_buffer 1
		.amdhsa_user_sgpr_dispatch_ptr 0
		.amdhsa_user_sgpr_queue_ptr 0
		.amdhsa_user_sgpr_kernarg_segment_ptr 1
		.amdhsa_user_sgpr_dispatch_id 0
		.amdhsa_user_sgpr_flat_scratch_init 0
		.amdhsa_user_sgpr_private_segment_size 0
		.amdhsa_uses_dynamic_stack 0
		.amdhsa_system_sgpr_private_segment_wavefront_offset 0
		.amdhsa_system_sgpr_workgroup_id_x 1
		.amdhsa_system_sgpr_workgroup_id_y 0
		.amdhsa_system_sgpr_workgroup_id_z 0
		.amdhsa_system_sgpr_workgroup_info 0
		.amdhsa_system_vgpr_workitem_id 0
		.amdhsa_next_free_vgpr 32
		.amdhsa_next_free_sgpr 28
		.amdhsa_reserve_vcc 1
		.amdhsa_reserve_flat_scratch 0
		.amdhsa_float_round_mode_32 0
		.amdhsa_float_round_mode_16_64 0
		.amdhsa_float_denorm_mode_32 3
		.amdhsa_float_denorm_mode_16_64 3
		.amdhsa_dx10_clamp 1
		.amdhsa_ieee_mode 1
		.amdhsa_fp16_overflow 0
		.amdhsa_exception_fp_ieee_invalid_op 0
		.amdhsa_exception_fp_denorm_src 0
		.amdhsa_exception_fp_ieee_div_zero 0
		.amdhsa_exception_fp_ieee_overflow 0
		.amdhsa_exception_fp_ieee_underflow 0
		.amdhsa_exception_fp_ieee_inexact 0
		.amdhsa_exception_int_div_zero 0
	.end_amdhsa_kernel
	.section	.text._Z25predicated_copy_2d_kernelILi256ELi4ELi4EEvPKfPfiii,"axG",@progbits,_Z25predicated_copy_2d_kernelILi256ELi4ELi4EEvPKfPfiii,comdat
.Lfunc_end3:
	.size	_Z25predicated_copy_2d_kernelILi256ELi4ELi4EEvPKfPfiii, .Lfunc_end3-_Z25predicated_copy_2d_kernelILi256ELi4ELi4EEvPKfPfiii
                                        ; -- End function
	.set _Z25predicated_copy_2d_kernelILi256ELi4ELi4EEvPKfPfiii.num_vgpr, 32
	.set _Z25predicated_copy_2d_kernelILi256ELi4ELi4EEvPKfPfiii.num_agpr, 0
	.set _Z25predicated_copy_2d_kernelILi256ELi4ELi4EEvPKfPfiii.numbered_sgpr, 28
	.set _Z25predicated_copy_2d_kernelILi256ELi4ELi4EEvPKfPfiii.num_named_barrier, 0
	.set _Z25predicated_copy_2d_kernelILi256ELi4ELi4EEvPKfPfiii.private_seg_size, 0
	.set _Z25predicated_copy_2d_kernelILi256ELi4ELi4EEvPKfPfiii.uses_vcc, 1
	.set _Z25predicated_copy_2d_kernelILi256ELi4ELi4EEvPKfPfiii.uses_flat_scratch, 0
	.set _Z25predicated_copy_2d_kernelILi256ELi4ELi4EEvPKfPfiii.has_dyn_sized_stack, 0
	.set _Z25predicated_copy_2d_kernelILi256ELi4ELi4EEvPKfPfiii.has_recursion, 0
	.set _Z25predicated_copy_2d_kernelILi256ELi4ELi4EEvPKfPfiii.has_indirect_call, 0
	.section	.AMDGPU.csdata,"",@progbits
; Kernel info:
; codeLenInByte = 1416
; TotalNumSgprs: 32
; NumVgprs: 32
; ScratchSize: 0
; MemoryBound: 0
; FloatMode: 240
; IeeeMode: 1
; LDSByteSize: 0 bytes/workgroup (compile time only)
; SGPRBlocks: 3
; VGPRBlocks: 7
; NumSGPRsForWavesPerEU: 32
; NumVGPRsForWavesPerEU: 32
; Occupancy: 8
; WaveLimiterHint : 0
; COMPUTE_PGM_RSRC2:SCRATCH_EN: 0
; COMPUTE_PGM_RSRC2:USER_SGPR: 6
; COMPUTE_PGM_RSRC2:TRAP_HANDLER: 0
; COMPUTE_PGM_RSRC2:TGID_X_EN: 1
; COMPUTE_PGM_RSRC2:TGID_Y_EN: 0
; COMPUTE_PGM_RSRC2:TGID_Z_EN: 0
; COMPUTE_PGM_RSRC2:TIDIG_COMP_CNT: 0
	.section	.AMDGPU.gpr_maximums,"",@progbits
	.set amdgpu.max_num_vgpr, 0
	.set amdgpu.max_num_agpr, 0
	.set amdgpu.max_num_sgpr, 0
	.section	.AMDGPU.csdata,"",@progbits
	.type	__hip_cuid_c3c9d63de5000781,@object ; @__hip_cuid_c3c9d63de5000781
	.section	.bss,"aw",@nobits
	.globl	__hip_cuid_c3c9d63de5000781
__hip_cuid_c3c9d63de5000781:
	.byte	0                               ; 0x0
	.size	__hip_cuid_c3c9d63de5000781, 1

	.ident	"AMD clang version 22.0.0git (https://github.com/RadeonOpenCompute/llvm-project roc-7.2.4 26084 f58b06dce1f9c15707c5f808fd002e18c2accf7e)"
	.section	".note.GNU-stack","",@progbits
	.addrsig
	.addrsig_sym __hip_cuid_c3c9d63de5000781
	.amdgpu_metadata
---
amdhsa.kernels:
  - .args:
      - .actual_access:  read_only
        .address_space:  global
        .offset:         0
        .size:           8
        .value_kind:     global_buffer
      - .actual_access:  write_only
        .address_space:  global
        .offset:         8
        .size:           8
        .value_kind:     global_buffer
      - .offset:         16
        .size:           4
        .value_kind:     by_value
    .group_segment_fixed_size: 0
    .kernarg_segment_align: 8
    .kernarg_segment_size: 20
    .language:       OpenCL C
    .language_version:
      - 2
      - 0
    .max_flat_workgroup_size: 1024
    .name:           _Z22predicated_copy_kernelILi256ELi4EEvPKfPfi
    .private_segment_fixed_size: 0
    .sgpr_count:     20
    .sgpr_spill_count: 0
    .symbol:         _Z22predicated_copy_kernelILi256ELi4EEvPKfPfi.kd
    .uniform_work_group_size: 1
    .uses_dynamic_stack: false
    .vgpr_count:     6
    .vgpr_spill_count: 0
    .wavefront_size: 64
  - .args:
      - .address_space:  global
        .offset:         0
        .size:           8
        .value_kind:     global_buffer
      - .address_space:  global
        .offset:         8
        .size:           8
        .value_kind:     global_buffer
      - .address_space:  global
        .offset:         16
        .size:           8
        .value_kind:     global_buffer
      - .offset:         24
        .size:           4
        .value_kind:     by_value
    .group_segment_fixed_size: 0
    .kernarg_segment_align: 8
    .kernarg_segment_size: 28
    .language:       OpenCL C
    .language_version:
      - 2
      - 0
    .max_flat_workgroup_size: 1024
    .name:           _Z20free_func_add_kernelILi256ELi4EEvPKfS1_Pfi
    .private_segment_fixed_size: 0
    .sgpr_count:     28
    .sgpr_spill_count: 0
    .symbol:         _Z20free_func_add_kernelILi256ELi4EEvPKfS1_Pfi.kd
    .uniform_work_group_size: 1
    .uses_dynamic_stack: false
    .vgpr_count:     10
    .vgpr_spill_count: 0
    .wavefront_size: 64
  - .args:
      - .actual_access:  read_only
        .address_space:  global
        .offset:         0
        .size:           8
        .value_kind:     global_buffer
      - .actual_access:  write_only
        .address_space:  global
        .offset:         8
        .size:           8
        .value_kind:     global_buffer
      - .offset:         16
        .size:           4
        .value_kind:     by_value
      - .offset:         20
        .size:           4
        .value_kind:     by_value
    .group_segment_fixed_size: 1024
    .kernarg_segment_align: 8
    .kernarg_segment_size: 24
    .language:       OpenCL C
    .language_version:
      - 2
      - 0
    .max_flat_workgroup_size: 1024
    .name:           _Z28predicated_async_load_kernelILi256EEvPKfPfii
    .private_segment_fixed_size: 0
    .sgpr_count:     16
    .sgpr_spill_count: 0
    .symbol:         _Z28predicated_async_load_kernelILi256EEvPKfPfii.kd
    .uniform_work_group_size: 1
    .uses_dynamic_stack: false
    .vgpr_count:     4
    .vgpr_spill_count: 0
    .wavefront_size: 64
  - .args:
      - .actual_access:  read_only
        .address_space:  global
        .offset:         0
        .size:           8
        .value_kind:     global_buffer
      - .actual_access:  write_only
        .address_space:  global
        .offset:         8
        .size:           8
        .value_kind:     global_buffer
      - .offset:         16
        .size:           4
        .value_kind:     by_value
      - .offset:         20
        .size:           4
        .value_kind:     by_value
      - .offset:         24
        .size:           4
        .value_kind:     by_value
    .group_segment_fixed_size: 0
    .kernarg_segment_align: 8
    .kernarg_segment_size: 28
    .language:       OpenCL C
    .language_version:
      - 2
      - 0
    .max_flat_workgroup_size: 1024
    .name:           _Z25predicated_copy_2d_kernelILi256ELi4ELi4EEvPKfPfiii
    .private_segment_fixed_size: 0
    .sgpr_count:     32
    .sgpr_spill_count: 0
    .symbol:         _Z25predicated_copy_2d_kernelILi256ELi4ELi4EEvPKfPfiii.kd
    .uniform_work_group_size: 1
    .uses_dynamic_stack: false
    .vgpr_count:     32
    .vgpr_spill_count: 0
    .wavefront_size: 64
amdhsa.target:   amdgcn-amd-amdhsa--gfx906
amdhsa.version:
  - 1
  - 2
...

	.end_amdgpu_metadata
